;; amdgpu-corpus repo=ROCm/rocFFT kind=compiled arch=gfx906 opt=O3
	.text
	.amdgcn_target "amdgcn-amd-amdhsa--gfx906"
	.amdhsa_code_object_version 6
	.protected	fft_rtc_fwd_len300_factors_10_10_3_wgs_60_tpt_30_halfLds_dp_ip_CI_unitstride_sbrr_dirReg ; -- Begin function fft_rtc_fwd_len300_factors_10_10_3_wgs_60_tpt_30_halfLds_dp_ip_CI_unitstride_sbrr_dirReg
	.globl	fft_rtc_fwd_len300_factors_10_10_3_wgs_60_tpt_30_halfLds_dp_ip_CI_unitstride_sbrr_dirReg
	.p2align	8
	.type	fft_rtc_fwd_len300_factors_10_10_3_wgs_60_tpt_30_halfLds_dp_ip_CI_unitstride_sbrr_dirReg,@function
fft_rtc_fwd_len300_factors_10_10_3_wgs_60_tpt_30_halfLds_dp_ip_CI_unitstride_sbrr_dirReg: ; @fft_rtc_fwd_len300_factors_10_10_3_wgs_60_tpt_30_halfLds_dp_ip_CI_unitstride_sbrr_dirReg
; %bb.0:
	s_load_dwordx2 s[12:13], s[4:5], 0x50
	s_load_dwordx4 s[8:11], s[4:5], 0x0
	s_load_dwordx2 s[2:3], s[4:5], 0x18
	v_mul_u32_u24_e32 v1, 0x889, v0
	v_lshrrev_b32_e32 v40, 16, v1
	v_mov_b32_e32 v3, 0
	s_waitcnt lgkmcnt(0)
	v_cmp_lt_u64_e64 s[0:1], s[10:11], 2
	v_mov_b32_e32 v1, 0
	v_lshl_add_u32 v5, s6, 1, v40
	v_mov_b32_e32 v6, v3
	s_and_b64 vcc, exec, s[0:1]
	v_mov_b32_e32 v2, 0
	s_cbranch_vccnz .LBB0_8
; %bb.1:
	s_load_dwordx2 s[0:1], s[4:5], 0x10
	s_add_u32 s6, s2, 8
	s_addc_u32 s7, s3, 0
	v_mov_b32_e32 v1, 0
	v_mov_b32_e32 v2, 0
	s_waitcnt lgkmcnt(0)
	s_add_u32 s14, s0, 8
	s_addc_u32 s15, s1, 0
	s_mov_b64 s[16:17], 1
.LBB0_2:                                ; =>This Inner Loop Header: Depth=1
	s_load_dwordx2 s[18:19], s[14:15], 0x0
                                        ; implicit-def: $vgpr7_vgpr8
	s_waitcnt lgkmcnt(0)
	v_or_b32_e32 v4, s19, v6
	v_cmp_ne_u64_e32 vcc, 0, v[3:4]
	s_and_saveexec_b64 s[0:1], vcc
	s_xor_b64 s[20:21], exec, s[0:1]
	s_cbranch_execz .LBB0_4
; %bb.3:                                ;   in Loop: Header=BB0_2 Depth=1
	v_cvt_f32_u32_e32 v4, s18
	v_cvt_f32_u32_e32 v7, s19
	s_sub_u32 s0, 0, s18
	s_subb_u32 s1, 0, s19
	v_mac_f32_e32 v4, 0x4f800000, v7
	v_rcp_f32_e32 v4, v4
	v_mul_f32_e32 v4, 0x5f7ffffc, v4
	v_mul_f32_e32 v7, 0x2f800000, v4
	v_trunc_f32_e32 v7, v7
	v_mac_f32_e32 v4, 0xcf800000, v7
	v_cvt_u32_f32_e32 v7, v7
	v_cvt_u32_f32_e32 v4, v4
	v_mul_lo_u32 v8, s0, v7
	v_mul_hi_u32 v9, s0, v4
	v_mul_lo_u32 v11, s1, v4
	v_mul_lo_u32 v10, s0, v4
	v_add_u32_e32 v8, v9, v8
	v_add_u32_e32 v8, v8, v11
	v_mul_hi_u32 v9, v4, v10
	v_mul_lo_u32 v11, v4, v8
	v_mul_hi_u32 v13, v4, v8
	v_mul_hi_u32 v12, v7, v10
	v_mul_lo_u32 v10, v7, v10
	v_mul_hi_u32 v14, v7, v8
	v_add_co_u32_e32 v9, vcc, v9, v11
	v_addc_co_u32_e32 v11, vcc, 0, v13, vcc
	v_mul_lo_u32 v8, v7, v8
	v_add_co_u32_e32 v9, vcc, v9, v10
	v_addc_co_u32_e32 v9, vcc, v11, v12, vcc
	v_addc_co_u32_e32 v10, vcc, 0, v14, vcc
	v_add_co_u32_e32 v8, vcc, v9, v8
	v_addc_co_u32_e32 v9, vcc, 0, v10, vcc
	v_add_co_u32_e32 v4, vcc, v4, v8
	v_addc_co_u32_e32 v7, vcc, v7, v9, vcc
	v_mul_lo_u32 v8, s0, v7
	v_mul_hi_u32 v9, s0, v4
	v_mul_lo_u32 v10, s1, v4
	v_mul_lo_u32 v11, s0, v4
	v_add_u32_e32 v8, v9, v8
	v_add_u32_e32 v8, v8, v10
	v_mul_lo_u32 v12, v4, v8
	v_mul_hi_u32 v13, v4, v11
	v_mul_hi_u32 v14, v4, v8
	;; [unrolled: 1-line block ×3, first 2 shown]
	v_mul_lo_u32 v11, v7, v11
	v_mul_hi_u32 v9, v7, v8
	v_add_co_u32_e32 v12, vcc, v13, v12
	v_addc_co_u32_e32 v13, vcc, 0, v14, vcc
	v_mul_lo_u32 v8, v7, v8
	v_add_co_u32_e32 v11, vcc, v12, v11
	v_addc_co_u32_e32 v10, vcc, v13, v10, vcc
	v_addc_co_u32_e32 v9, vcc, 0, v9, vcc
	v_add_co_u32_e32 v8, vcc, v10, v8
	v_addc_co_u32_e32 v9, vcc, 0, v9, vcc
	v_add_co_u32_e32 v4, vcc, v4, v8
	v_addc_co_u32_e32 v9, vcc, v7, v9, vcc
	v_mad_u64_u32 v[7:8], s[0:1], v5, v9, 0
	v_mul_hi_u32 v10, v5, v4
	v_add_co_u32_e32 v11, vcc, v10, v7
	v_addc_co_u32_e32 v12, vcc, 0, v8, vcc
	v_mad_u64_u32 v[7:8], s[0:1], v6, v4, 0
	v_mad_u64_u32 v[9:10], s[0:1], v6, v9, 0
	v_add_co_u32_e32 v4, vcc, v11, v7
	v_addc_co_u32_e32 v4, vcc, v12, v8, vcc
	v_addc_co_u32_e32 v7, vcc, 0, v10, vcc
	v_add_co_u32_e32 v4, vcc, v4, v9
	v_addc_co_u32_e32 v9, vcc, 0, v7, vcc
	v_mul_lo_u32 v10, s19, v4
	v_mul_lo_u32 v11, s18, v9
	v_mad_u64_u32 v[7:8], s[0:1], s18, v4, 0
	v_add3_u32 v8, v8, v11, v10
	v_sub_u32_e32 v10, v6, v8
	v_mov_b32_e32 v11, s19
	v_sub_co_u32_e32 v7, vcc, v5, v7
	v_subb_co_u32_e64 v10, s[0:1], v10, v11, vcc
	v_subrev_co_u32_e64 v11, s[0:1], s18, v7
	v_subbrev_co_u32_e64 v10, s[0:1], 0, v10, s[0:1]
	v_cmp_le_u32_e64 s[0:1], s19, v10
	v_cndmask_b32_e64 v12, 0, -1, s[0:1]
	v_cmp_le_u32_e64 s[0:1], s18, v11
	v_cndmask_b32_e64 v11, 0, -1, s[0:1]
	v_cmp_eq_u32_e64 s[0:1], s19, v10
	v_cndmask_b32_e64 v10, v12, v11, s[0:1]
	v_add_co_u32_e64 v11, s[0:1], 2, v4
	v_addc_co_u32_e64 v12, s[0:1], 0, v9, s[0:1]
	v_add_co_u32_e64 v13, s[0:1], 1, v4
	v_addc_co_u32_e64 v14, s[0:1], 0, v9, s[0:1]
	v_subb_co_u32_e32 v8, vcc, v6, v8, vcc
	v_cmp_ne_u32_e64 s[0:1], 0, v10
	v_cmp_le_u32_e32 vcc, s19, v8
	v_cndmask_b32_e64 v10, v14, v12, s[0:1]
	v_cndmask_b32_e64 v12, 0, -1, vcc
	v_cmp_le_u32_e32 vcc, s18, v7
	v_cndmask_b32_e64 v7, 0, -1, vcc
	v_cmp_eq_u32_e32 vcc, s19, v8
	v_cndmask_b32_e32 v7, v12, v7, vcc
	v_cmp_ne_u32_e32 vcc, 0, v7
	v_cndmask_b32_e64 v7, v13, v11, s[0:1]
	v_cndmask_b32_e32 v8, v9, v10, vcc
	v_cndmask_b32_e32 v7, v4, v7, vcc
.LBB0_4:                                ;   in Loop: Header=BB0_2 Depth=1
	s_andn2_saveexec_b64 s[0:1], s[20:21]
	s_cbranch_execz .LBB0_6
; %bb.5:                                ;   in Loop: Header=BB0_2 Depth=1
	v_cvt_f32_u32_e32 v4, s18
	s_sub_i32 s20, 0, s18
	v_rcp_iflag_f32_e32 v4, v4
	v_mul_f32_e32 v4, 0x4f7ffffe, v4
	v_cvt_u32_f32_e32 v4, v4
	v_mul_lo_u32 v7, s20, v4
	v_mul_hi_u32 v7, v4, v7
	v_add_u32_e32 v4, v4, v7
	v_mul_hi_u32 v4, v5, v4
	v_mul_lo_u32 v7, v4, s18
	v_add_u32_e32 v8, 1, v4
	v_sub_u32_e32 v7, v5, v7
	v_subrev_u32_e32 v9, s18, v7
	v_cmp_le_u32_e32 vcc, s18, v7
	v_cndmask_b32_e32 v7, v7, v9, vcc
	v_cndmask_b32_e32 v4, v4, v8, vcc
	v_add_u32_e32 v8, 1, v4
	v_cmp_le_u32_e32 vcc, s18, v7
	v_cndmask_b32_e32 v7, v4, v8, vcc
	v_mov_b32_e32 v8, v3
.LBB0_6:                                ;   in Loop: Header=BB0_2 Depth=1
	s_or_b64 exec, exec, s[0:1]
	v_mul_lo_u32 v4, v8, s18
	v_mul_lo_u32 v11, v7, s19
	v_mad_u64_u32 v[9:10], s[0:1], v7, s18, 0
	s_load_dwordx2 s[0:1], s[6:7], 0x0
	s_add_u32 s16, s16, 1
	v_add3_u32 v4, v10, v11, v4
	v_sub_co_u32_e32 v5, vcc, v5, v9
	v_subb_co_u32_e32 v4, vcc, v6, v4, vcc
	s_waitcnt lgkmcnt(0)
	v_mul_lo_u32 v4, s0, v4
	v_mul_lo_u32 v6, s1, v5
	v_mad_u64_u32 v[1:2], s[0:1], s0, v5, v[1:2]
	s_addc_u32 s17, s17, 0
	s_add_u32 s6, s6, 8
	v_add3_u32 v2, v6, v2, v4
	v_mov_b32_e32 v4, s10
	v_mov_b32_e32 v5, s11
	s_addc_u32 s7, s7, 0
	v_cmp_ge_u64_e32 vcc, s[16:17], v[4:5]
	s_add_u32 s14, s14, 8
	s_addc_u32 s15, s15, 0
	s_cbranch_vccnz .LBB0_9
; %bb.7:                                ;   in Loop: Header=BB0_2 Depth=1
	v_mov_b32_e32 v5, v7
	v_mov_b32_e32 v6, v8
	s_branch .LBB0_2
.LBB0_8:
	v_mov_b32_e32 v8, v6
	v_mov_b32_e32 v7, v5
.LBB0_9:
	s_lshl_b64 s[0:1], s[10:11], 3
	s_add_u32 s0, s2, s0
	s_addc_u32 s1, s3, s1
	s_load_dwordx2 s[2:3], s[0:1], 0x0
	s_load_dwordx2 s[6:7], s[4:5], 0x20
                                        ; implicit-def: $vgpr26_vgpr27
                                        ; implicit-def: $vgpr10_vgpr11
                                        ; implicit-def: $vgpr30_vgpr31
                                        ; implicit-def: $vgpr14_vgpr15
                                        ; implicit-def: $vgpr34_vgpr35
                                        ; implicit-def: $vgpr18_vgpr19
                                        ; implicit-def: $vgpr38_vgpr39
                                        ; implicit-def: $vgpr22_vgpr23
	s_waitcnt lgkmcnt(0)
	v_mad_u64_u32 v[1:2], s[0:1], s2, v7, v[1:2]
	v_mul_lo_u32 v3, s2, v8
	v_mul_lo_u32 v4, s3, v7
	s_mov_b32 s0, 0x8888889
	v_mul_hi_u32 v5, v0, s0
	v_cmp_gt_u64_e64 s[0:1], s[6:7], v[7:8]
	v_add3_u32 v2, v4, v2, v3
	v_lshlrev_b64 v[52:53], 4, v[1:2]
	v_mul_u32_u24_e32 v3, 30, v5
	v_sub_u32_e32 v50, v0, v3
                                        ; implicit-def: $vgpr2_vgpr3
                                        ; implicit-def: $vgpr6_vgpr7
	s_and_saveexec_b64 s[2:3], s[0:1]
	s_cbranch_execz .LBB0_11
; %bb.10:
	v_mov_b32_e32 v51, 0
	v_mov_b32_e32 v0, s13
	v_add_co_u32_e32 v2, vcc, s12, v52
	v_addc_co_u32_e32 v3, vcc, v0, v53, vcc
	v_lshlrev_b64 v[0:1], 4, v[50:51]
	v_add_co_u32_e32 v41, vcc, v2, v0
	v_addc_co_u32_e32 v42, vcc, v3, v1, vcc
	v_add_co_u32_e32 v43, vcc, 0x1000, v41
	global_load_dwordx4 v[20:23], v[41:42], off
	global_load_dwordx4 v[4:7], v[41:42], off offset:480
	v_addc_co_u32_e32 v44, vcc, 0, v42, vcc
	global_load_dwordx4 v[36:39], v[41:42], off offset:960
	global_load_dwordx4 v[16:19], v[41:42], off offset:1440
	;; [unrolled: 1-line block ×8, first 2 shown]
.LBB0_11:
	s_or_b64 exec, exec, s[2:3]
	s_waitcnt vmcnt(7)
	v_add_f64 v[41:42], v[36:37], v[20:21]
	s_waitcnt vmcnt(3)
	v_add_f64 v[43:44], v[28:29], v[32:33]
	v_and_b32_e32 v49, 1, v40
	s_waitcnt vmcnt(1)
	v_add_f64 v[45:46], v[38:39], -v[26:27]
	v_add_f64 v[54:55], v[36:37], -v[32:33]
	;; [unrolled: 1-line block ×3, first 2 shown]
	v_add_f64 v[58:59], v[24:25], v[36:37]
	s_mov_b32 s10, 0x134454ff
	v_add_f64 v[40:41], v[32:33], v[41:42]
	v_fma_f64 v[42:43], v[43:44], -0.5, v[20:21]
	s_mov_b32 s11, 0x3fee6f0e
	s_mov_b32 s15, 0xbfee6f0e
	;; [unrolled: 1-line block ×3, first 2 shown]
	v_add_f64 v[47:48], v[34:35], -v[30:31]
	v_add_f64 v[54:55], v[56:57], v[54:55]
	v_fma_f64 v[56:57], v[58:59], -0.5, v[20:21]
	v_add_f64 v[40:41], v[28:29], v[40:41]
	v_fma_f64 v[60:61], v[45:46], s[10:11], v[42:43]
	v_fma_f64 v[42:43], v[45:46], s[14:15], v[42:43]
	s_mov_b32 s4, 0x4755a5e
	s_mov_b32 s5, 0x3fe2cf23
	s_mov_b32 s17, 0xbfe2cf23
	s_mov_b32 s16, s4
	v_add_f64 v[58:59], v[38:39], v[22:23]
	v_add_f64 v[20:21], v[24:25], v[40:41]
	v_fma_f64 v[40:41], v[47:48], s[4:5], v[60:61]
	v_add_f64 v[60:61], v[30:31], v[34:35]
	v_fma_f64 v[62:63], v[47:48], s[14:15], v[56:57]
	v_fma_f64 v[42:43], v[47:48], s[16:17], v[42:43]
	;; [unrolled: 1-line block ×3, first 2 shown]
	s_mov_b32 s6, 0x372fe950
	s_mov_b32 s7, 0x3fd3c6ef
	v_add_f64 v[64:65], v[32:33], -v[36:37]
	v_add_f64 v[66:67], v[28:29], -v[24:25]
	v_add_f64 v[56:57], v[34:35], v[58:59]
	v_fma_f64 v[58:59], v[60:61], -0.5, v[22:23]
	v_add_f64 v[60:61], v[36:37], -v[24:25]
	v_fma_f64 v[62:63], v[45:46], s[4:5], v[62:63]
	v_fma_f64 v[36:37], v[54:55], s[6:7], v[40:41]
	v_fma_f64 v[40:41], v[45:46], s[16:17], v[47:48]
	v_add_f64 v[44:45], v[26:27], v[38:39]
	v_cmp_eq_u32_e32 vcc, 1, v49
	v_add_f64 v[64:65], v[66:67], v[64:65]
	v_fma_f64 v[24:25], v[54:55], s[6:7], v[42:43]
	v_add_f64 v[42:43], v[30:31], v[56:57]
	v_fma_f64 v[46:47], v[60:61], s[14:15], v[58:59]
	v_add_f64 v[32:33], v[32:33], -v[28:29]
	v_add_f64 v[48:49], v[8:9], v[12:13]
	v_add_f64 v[54:55], v[38:39], -v[34:35]
	v_add_f64 v[56:57], v[26:27], -v[30:31]
	v_fma_f64 v[22:23], v[44:45], -0.5, v[22:23]
	v_fma_f64 v[28:29], v[64:65], s[6:7], v[62:63]
	s_waitcnt vmcnt(0)
	v_add_f64 v[62:63], v[18:19], -v[2:3]
	v_fma_f64 v[40:41], v[64:65], s[6:7], v[40:41]
	v_fma_f64 v[44:45], v[32:33], s[16:17], v[46:47]
	v_add_f64 v[46:47], v[16:17], v[4:5]
	v_fma_f64 v[48:49], v[48:49], -0.5, v[4:5]
	v_add_f64 v[54:55], v[56:57], v[54:55]
	v_fma_f64 v[56:57], v[60:61], s[10:11], v[58:59]
	v_fma_f64 v[58:59], v[32:33], s[10:11], v[22:23]
	v_add_f64 v[42:43], v[26:27], v[42:43]
	v_add_f64 v[34:35], v[34:35], -v[38:39]
	v_add_f64 v[26:27], v[30:31], -v[26:27]
	v_fma_f64 v[22:23], v[32:33], s[14:15], v[22:23]
	v_add_f64 v[30:31], v[12:13], v[46:47]
	v_fma_f64 v[38:39], v[62:63], s[10:11], v[48:49]
	v_add_f64 v[46:47], v[14:15], -v[10:11]
	v_add_f64 v[64:65], v[16:17], -v[12:13]
	;; [unrolled: 1-line block ×3, first 2 shown]
	v_fma_f64 v[32:33], v[32:33], s[4:5], v[56:57]
	v_fma_f64 v[56:57], v[60:61], s[16:17], v[58:59]
	v_add_f64 v[58:59], v[0:1], v[16:17]
	v_add_f64 v[26:27], v[26:27], v[34:35]
	v_fma_f64 v[22:23], v[60:61], s[4:5], v[22:23]
	v_add_f64 v[30:31], v[8:9], v[30:31]
	v_fma_f64 v[34:35], v[46:47], s[4:5], v[38:39]
	;; [unrolled: 2-line block ×3, first 2 shown]
	v_fma_f64 v[44:45], v[54:55], s[6:7], v[44:45]
	v_fma_f64 v[4:5], v[58:59], -0.5, v[4:5]
	v_fma_f64 v[54:55], v[54:55], s[6:7], v[32:33]
	v_fma_f64 v[56:57], v[26:27], s[6:7], v[56:57]
	;; [unrolled: 1-line block ×3, first 2 shown]
	v_add_f64 v[26:27], v[0:1], v[30:31]
	v_fma_f64 v[22:23], v[38:39], s[6:7], v[34:35]
	v_add_f64 v[30:31], v[10:11], v[14:15]
	v_fma_f64 v[32:33], v[46:47], s[16:17], v[48:49]
	v_fma_f64 v[34:35], v[46:47], s[14:15], v[4:5]
	v_add_f64 v[60:61], v[18:19], v[6:7]
	v_add_f64 v[66:67], v[2:3], v[18:19]
	v_add_f64 v[48:49], v[12:13], -v[16:17]
	v_add_f64 v[64:65], v[8:9], -v[0:1]
	v_fma_f64 v[4:5], v[46:47], s[10:11], v[4:5]
	v_fma_f64 v[30:31], v[30:31], -0.5, v[6:7]
	v_add_f64 v[0:1], v[16:17], -v[0:1]
	v_fma_f64 v[16:17], v[38:39], s[6:7], v[32:33]
	v_fma_f64 v[32:33], v[62:63], s[4:5], v[34:35]
	v_add_f64 v[34:35], v[14:15], v[60:61]
	v_add_f64 v[8:9], v[12:13], -v[8:9]
	v_fma_f64 v[6:7], v[66:67], -0.5, v[6:7]
	v_add_f64 v[12:13], v[64:65], v[48:49]
	v_fma_f64 v[4:5], v[62:63], s[16:17], v[4:5]
	v_add_f64 v[46:47], v[18:19], -v[14:15]
	v_add_f64 v[48:49], v[2:3], -v[10:11]
	;; [unrolled: 1-line block ×3, first 2 shown]
	v_add_f64 v[34:35], v[10:11], v[34:35]
	v_add_f64 v[10:11], v[10:11], -v[2:3]
	v_fma_f64 v[60:61], v[8:9], s[10:11], v[6:7]
	v_fma_f64 v[6:7], v[8:9], s[14:15], v[6:7]
	;; [unrolled: 1-line block ×6, first 2 shown]
	s_mov_b32 s18, 0x9b97f4a8
	v_add_f64 v[10:11], v[10:11], v[14:15]
	v_fma_f64 v[12:13], v[0:1], s[16:17], v[60:61]
	v_fma_f64 v[0:1], v[0:1], s[4:5], v[6:7]
	;; [unrolled: 1-line block ×3, first 2 shown]
	v_add_f64 v[38:39], v[48:49], v[46:47]
	v_fma_f64 v[8:9], v[8:9], s[4:5], v[30:31]
	s_mov_b32 s19, 0x3fe9e377
	v_add_f64 v[34:35], v[2:3], v[34:35]
	v_mul_f64 v[2:3], v[22:23], s[18:19]
	v_fma_f64 v[12:13], v[10:11], s[6:7], v[12:13]
	v_fma_f64 v[10:11], v[10:11], s[6:7], v[0:1]
	v_mul_f64 v[14:15], v[32:33], s[6:7]
	v_fma_f64 v[6:7], v[38:39], s[6:7], v[18:19]
	v_fma_f64 v[8:9], v[38:39], s[6:7], v[8:9]
	v_mul_f64 v[18:19], v[4:5], s[6:7]
	v_mul_f64 v[30:31], v[16:17], s[18:19]
	;; [unrolled: 1-line block ×5, first 2 shown]
	v_fma_f64 v[60:61], v[12:13], s[10:11], v[14:15]
	v_fma_f64 v[38:39], v[6:7], s[4:5], v[2:3]
	v_mul_f64 v[48:49], v[8:9], s[18:19]
	v_fma_f64 v[62:63], v[10:11], s[10:11], -v[18:19]
	v_fma_f64 v[64:65], v[8:9], s[4:5], -v[30:31]
	v_fma_f64 v[66:67], v[6:7], s[18:19], v[22:23]
	v_fma_f64 v[68:69], v[12:13], s[6:7], v[32:33]
	v_fma_f64 v[46:47], v[4:5], s[14:15], -v[46:47]
	v_add_f64 v[0:1], v[26:27], v[20:21]
	v_add_f64 v[2:3], v[36:37], v[38:39]
	v_fma_f64 v[48:49], v[16:17], s[16:17], -v[48:49]
	v_add_f64 v[4:5], v[28:29], v[60:61]
	v_add_f64 v[6:7], v[40:41], v[62:63]
	;; [unrolled: 1-line block ×3, first 2 shown]
	v_add_f64 v[10:11], v[20:21], -v[26:27]
	v_mov_b32_e32 v51, 0x960
	v_add_f64 v[26:27], v[36:37], -v[38:39]
	v_add_f64 v[28:29], v[28:29], -v[60:61]
	v_cndmask_b32_e32 v51, 0, v51, vcc
	v_add_f64 v[30:31], v[40:41], -v[62:63]
	v_add_f64 v[32:33], v[24:25], -v[64:65]
	v_add_f64 v[12:13], v[34:35], v[42:43]
	v_add_f64 v[14:15], v[44:45], v[66:67]
	v_mul_u32_u24_e32 v20, 10, v50
	v_add_u32_e32 v21, 0, v51
	v_add_f64 v[16:17], v[56:57], v[68:69]
	v_add_f64 v[18:19], v[58:59], v[46:47]
	v_lshl_add_u32 v20, v20, 3, v21
	s_movk_i32 s2, 0xffb8
	v_add_f64 v[22:23], v[54:55], v[48:49]
	v_add_f64 v[24:25], v[42:43], -v[34:35]
	v_mad_i32_i24 v72, v50, s2, v20
	s_movk_i32 s2, 0xcd
	v_add_f64 v[34:35], v[44:45], -v[66:67]
	v_add_f64 v[36:37], v[56:57], -v[68:69]
	ds_write_b128 v20, v[0:3]
	ds_write_b128 v20, v[4:7] offset:16
	ds_write_b128 v20, v[8:11] offset:32
	;; [unrolled: 1-line block ×4, first 2 shown]
	v_mul_lo_u16_sdwa v2, v50, s2 dst_sel:DWORD dst_unused:UNUSED_PAD src0_sel:BYTE_0 src1_sel:DWORD
	v_add_f64 v[38:39], v[58:59], -v[46:47]
	v_add_f64 v[40:41], v[54:55], -v[48:49]
	v_lshrrev_b16_e32 v3, 11, v2
	v_mul_lo_u16_e32 v2, 10, v3
	v_sub_u16_e32 v2, v50, v2
	v_mov_b32_e32 v8, 9
	v_mul_u32_u24_sdwa v8, v2, v8 dst_sel:DWORD dst_unused:UNUSED_PAD src0_sel:BYTE_0 src1_sel:DWORD
	s_waitcnt lgkmcnt(0)
	; wave barrier
	s_waitcnt lgkmcnt(0)
	v_lshl_add_u32 v73, v50, 3, v21
	ds_read2_b64 v[4:7], v72 offset0:30 offset1:60
	ds_read2_b64 v[26:29], v72 offset0:90 offset1:120
	;; [unrolled: 1-line block ×4, first 2 shown]
	ds_read_b64 v[0:1], v73
	ds_read_b64 v[48:49], v72 offset:2160
	s_waitcnt lgkmcnt(0)
	; wave barrier
	s_waitcnt lgkmcnt(0)
	ds_write_b128 v20, v[12:15]
	ds_write_b128 v20, v[16:19] offset:16
	ds_write_b128 v20, v[22:25] offset:32
	ds_write_b128 v20, v[34:37] offset:48
	ds_write_b128 v20, v[38:41] offset:64
	v_lshlrev_b32_e32 v16, 4, v8
	s_waitcnt lgkmcnt(0)
	; wave barrier
	s_waitcnt lgkmcnt(0)
	global_load_dwordx4 v[8:11], v16, s[8:9]
	global_load_dwordx4 v[12:15], v16, s[8:9] offset:16
	global_load_dwordx4 v[18:21], v16, s[8:9] offset:32
	;; [unrolled: 1-line block ×8, first 2 shown]
	ds_read2_b64 v[66:69], v72 offset0:30 offset1:60
	ds_read2_b64 v[74:77], v72 offset0:90 offset1:120
	;; [unrolled: 1-line block ×3, first 2 shown]
	s_movk_i32 s2, 0x320
	v_mad_u32_u24 v3, v3, s2, 0
	v_cmp_gt_u32_e64 s[2:3], 10, v50
	s_waitcnt vmcnt(8) lgkmcnt(2)
	v_mul_f64 v[16:17], v[66:67], v[10:11]
	v_mul_f64 v[10:11], v[4:5], v[10:11]
	s_waitcnt vmcnt(7)
	v_mul_f64 v[34:35], v[68:69], v[14:15]
	v_mul_f64 v[70:71], v[6:7], v[14:15]
	v_fma_f64 v[82:83], v[4:5], v[8:9], -v[16:17]
	v_fma_f64 v[4:5], v[66:67], v[8:9], v[10:11]
	s_waitcnt vmcnt(5) lgkmcnt(1)
	v_mul_f64 v[8:9], v[76:77], v[24:25]
	v_fma_f64 v[14:15], v[6:7], v[12:13], -v[34:35]
	v_mul_f64 v[6:7], v[74:75], v[20:21]
	v_fma_f64 v[10:11], v[68:69], v[12:13], v[70:71]
	s_waitcnt vmcnt(4) lgkmcnt(0)
	v_mul_f64 v[12:13], v[80:81], v[38:39]
	v_mul_f64 v[20:21], v[26:27], v[20:21]
	;; [unrolled: 1-line block ×3, first 2 shown]
	v_fma_f64 v[16:17], v[28:29], v[22:23], -v[8:9]
	s_waitcnt vmcnt(3)
	v_mul_f64 v[8:9], v[46:47], v[42:43]
	v_fma_f64 v[68:69], v[26:27], v[18:19], -v[6:7]
	ds_read2_b64 v[24:27], v72 offset0:210 offset1:240
	v_fma_f64 v[34:35], v[32:33], v[36:37], -v[12:13]
	v_fma_f64 v[12:13], v[74:75], v[18:19], v[20:21]
	s_waitcnt vmcnt(2)
	v_mul_f64 v[18:19], v[78:79], v[56:57]
	v_mul_f64 v[28:29], v[30:31], v[56:57]
	s_waitcnt lgkmcnt(0)
	v_mul_f64 v[20:21], v[26:27], v[42:43]
	v_fma_f64 v[8:9], v[26:27], v[40:41], v[8:9]
	v_mul_f64 v[26:27], v[32:33], v[38:39]
	v_fma_f64 v[6:7], v[76:77], v[22:23], v[66:67]
	v_add_f64 v[22:23], v[16:17], v[34:35]
	ds_read_b64 v[32:33], v72 offset:2160
	v_fma_f64 v[18:19], v[30:31], v[54:55], -v[18:19]
	v_fma_f64 v[38:39], v[78:79], v[54:55], v[28:29]
	v_fma_f64 v[42:43], v[46:47], v[40:41], -v[20:21]
	s_waitcnt vmcnt(1)
	v_mul_f64 v[28:29], v[44:45], v[60:61]
	v_fma_f64 v[36:37], v[80:81], v[36:37], v[26:27]
	v_mul_f64 v[26:27], v[24:25], v[60:61]
	s_waitcnt vmcnt(0) lgkmcnt(0)
	v_mul_f64 v[30:31], v[32:33], v[64:65]
	v_fma_f64 v[20:21], v[22:23], -0.5, v[0:1]
	v_add_f64 v[22:23], v[10:11], -v[8:9]
	v_mul_f64 v[46:47], v[48:49], v[64:65]
	v_add_f64 v[40:41], v[14:15], v[42:43]
	v_add_f64 v[60:61], v[14:15], -v[16:17]
	v_add_f64 v[56:57], v[6:7], -v[36:37]
	v_fma_f64 v[26:27], v[44:45], v[58:59], -v[26:27]
	v_add_f64 v[64:65], v[42:43], -v[34:35]
	v_fma_f64 v[44:45], v[24:25], v[58:59], v[28:29]
	v_fma_f64 v[28:29], v[48:49], v[62:63], -v[30:31]
	v_fma_f64 v[54:55], v[22:23], s[10:11], v[20:21]
	v_fma_f64 v[24:25], v[40:41], -0.5, v[0:1]
	v_fma_f64 v[40:41], v[32:33], v[62:63], v[46:47]
	v_fma_f64 v[20:21], v[22:23], s[14:15], v[20:21]
	v_add_f64 v[46:47], v[18:19], v[26:27]
	v_add_f64 v[32:33], v[60:61], v[64:65]
	v_add_f64 v[58:59], v[34:35], -v[42:43]
	v_add_f64 v[60:61], v[68:69], v[28:29]
	v_fma_f64 v[30:31], v[56:57], s[4:5], v[54:55]
	v_fma_f64 v[48:49], v[56:57], s[14:15], v[24:25]
	v_add_f64 v[54:55], v[16:17], -v[14:15]
	v_add_f64 v[64:65], v[12:13], -v[40:41]
	v_fma_f64 v[46:47], v[46:47], -0.5, v[82:83]
	v_fma_f64 v[24:25], v[56:57], s[10:11], v[24:25]
	v_add_f64 v[62:63], v[82:83], v[68:69]
	v_fma_f64 v[20:21], v[56:57], s[16:17], v[20:21]
	v_fma_f64 v[56:57], v[60:61], -0.5, v[82:83]
	v_fma_f64 v[70:71], v[22:23], s[4:5], v[48:49]
	v_add_f64 v[48:49], v[38:39], -v[44:45]
	v_add_f64 v[54:55], v[54:55], v[58:59]
	v_fma_f64 v[58:59], v[64:65], s[10:11], v[46:47]
	v_fma_f64 v[46:47], v[64:65], s[14:15], v[46:47]
	;; [unrolled: 1-line block ×3, first 2 shown]
	v_add_f64 v[24:25], v[62:63], v[18:19]
	v_add_f64 v[60:61], v[68:69], -v[18:19]
	v_add_f64 v[62:63], v[28:29], -v[26:27]
	v_fma_f64 v[66:67], v[48:49], s[14:15], v[56:57]
	v_fma_f64 v[56:57], v[48:49], s[10:11], v[56:57]
	v_add_f64 v[78:79], v[38:39], v[44:45]
	v_add_f64 v[74:75], v[18:19], -v[68:69]
	v_add_f64 v[76:77], v[26:27], -v[28:29]
	v_fma_f64 v[80:81], v[48:49], s[4:5], v[58:59]
	v_fma_f64 v[58:59], v[48:49], s[16:17], v[46:47]
	v_add_f64 v[48:49], v[12:13], v[40:41]
	v_add_f64 v[24:25], v[24:25], v[26:27]
	;; [unrolled: 1-line block ×3, first 2 shown]
	v_fma_f64 v[62:63], v[64:65], s[4:5], v[66:67]
	v_fma_f64 v[46:47], v[64:65], s[16:17], v[56:57]
	v_fma_f64 v[56:57], v[78:79], -0.5, v[4:5]
	v_add_f64 v[64:65], v[68:69], -v[28:29]
	v_add_f64 v[18:19], v[18:19], -v[26:27]
	;; [unrolled: 1-line block ×4, first 2 shown]
	v_add_f64 v[66:67], v[74:75], v[76:77]
	v_add_f64 v[74:75], v[38:39], -v[12:13]
	v_add_f64 v[76:77], v[44:45], -v[40:41]
	v_fma_f64 v[48:49], v[48:49], -0.5, v[4:5]
	v_add_f64 v[0:1], v[0:1], v[14:15]
	v_fma_f64 v[78:79], v[64:65], s[10:11], v[56:57]
	v_fma_f64 v[58:59], v[60:61], s[6:7], v[58:59]
	v_add_f64 v[26:27], v[26:27], v[68:69]
	v_fma_f64 v[68:69], v[64:65], s[14:15], v[56:57]
	v_fma_f64 v[46:47], v[66:67], s[6:7], v[46:47]
	;; [unrolled: 3-line block ×4, first 2 shown]
	v_fma_f64 v[68:69], v[18:19], s[16:17], v[68:69]
	v_fma_f64 v[18:19], v[18:19], s[4:5], v[78:79]
	v_add_f64 v[24:25], v[24:25], v[28:29]
	v_fma_f64 v[76:77], v[64:65], s[16:17], v[76:77]
	v_fma_f64 v[64:65], v[64:65], s[4:5], v[48:49]
	v_add_f64 v[0:1], v[0:1], v[34:35]
	v_fma_f64 v[22:23], v[54:55], s[6:7], v[22:23]
	v_fma_f64 v[20:21], v[32:33], s[6:7], v[20:21]
	;; [unrolled: 1-line block ×6, first 2 shown]
	v_mul_f64 v[76:77], v[46:47], s[6:7]
	v_fma_f64 v[64:65], v[26:27], s[6:7], v[18:19]
	v_mul_f64 v[18:19], v[58:59], s[18:19]
	v_mul_f64 v[60:61], v[48:49], s[4:5]
	v_add_f64 v[0:1], v[0:1], v[42:43]
	v_fma_f64 v[26:27], v[54:55], s[6:7], v[70:71]
	v_mul_f64 v[74:75], v[56:57], s[10:11]
	ds_read_b64 v[70:71], v73
	s_waitcnt lgkmcnt(0)
	; wave barrier
	s_waitcnt lgkmcnt(0)
	v_fma_f64 v[18:19], v[64:65], s[4:5], -v[18:19]
	v_fma_f64 v[28:29], v[68:69], s[18:19], v[60:61]
	v_fma_f64 v[60:61], v[62:63], s[10:11], -v[76:77]
	v_add_f64 v[32:33], v[0:1], v[24:25]
	v_fma_f64 v[54:55], v[66:67], s[6:7], v[74:75]
	v_add_f64 v[24:25], v[0:1], -v[24:25]
	v_add_f64 v[80:81], v[20:21], v[18:19]
	v_add_f64 v[74:75], v[30:31], v[28:29]
	;; [unrolled: 1-line block ×3, first 2 shown]
	v_add_f64 v[28:29], v[30:31], -v[28:29]
	v_add_f64 v[76:77], v[26:27], v[54:55]
	v_add_f64 v[26:27], v[26:27], -v[54:55]
	v_add_f64 v[22:23], v[22:23], -v[60:61]
	v_add_f64 v[0:1], v[20:21], -v[18:19]
	v_mov_b32_e32 v18, 3
	v_lshlrev_b32_sdwa v2, v18, v2 dst_sel:DWORD dst_unused:UNUSED_PAD src0_sel:DWORD src1_sel:BYTE_0
	v_add3_u32 v51, v3, v2, v51
	ds_write2_b64 v51, v[32:33], v[74:75] offset1:10
	ds_write2_b64 v51, v[76:77], v[78:79] offset0:20 offset1:30
	ds_write2_b64 v51, v[80:81], v[24:25] offset0:40 offset1:50
	;; [unrolled: 1-line block ×4, first 2 shown]
	s_waitcnt lgkmcnt(0)
	; wave barrier
	s_waitcnt lgkmcnt(0)
	ds_read_b64 v[60:61], v73
	ds_read2_b64 v[22:25], v72 offset0:100 offset1:130
	ds_read2_b64 v[18:21], v72 offset0:160 offset1:200
	;; [unrolled: 1-line block ×3, first 2 shown]
	v_add_u32_e32 v74, 0x400, v72
	ds_read2_b64 v[30:33], v74 offset0:102 offset1:132
                                        ; implicit-def: $vgpr54_vgpr55
	s_and_saveexec_b64 s[20:21], s[2:3]
	s_cbranch_execz .LBB0_13
; %bb.12:
	ds_read2_b64 v[0:3], v72 offset0:90 offset1:190
	ds_read_b64 v[54:55], v72 offset:2320
.LBB0_13:
	s_or_b64 exec, exec, s[20:21]
	v_add_f64 v[75:76], v[6:7], v[36:37]
	v_add_f64 v[77:78], v[10:11], v[8:9]
	;; [unrolled: 1-line block ×3, first 2 shown]
	v_add_f64 v[14:15], v[14:15], -v[42:43]
	v_add_f64 v[4:5], v[4:5], v[12:13]
	v_add_f64 v[16:17], v[16:17], -v[34:35]
	v_add_f64 v[34:35], v[10:11], -v[6:7]
	;; [unrolled: 1-line block ×3, first 2 shown]
	v_fma_f64 v[75:76], v[75:76], -0.5, v[70:71]
	v_fma_f64 v[70:71], v[77:78], -0.5, v[70:71]
	v_add_f64 v[10:11], v[6:7], -v[10:11]
	v_mul_f64 v[12:13], v[68:69], s[16:17]
	v_add_f64 v[6:7], v[79:80], v[6:7]
	v_add_f64 v[4:5], v[4:5], v[38:39]
	v_add_f64 v[77:78], v[36:37], -v[8:9]
	v_add_f64 v[34:35], v[34:35], v[42:43]
	v_fma_f64 v[68:69], v[14:15], s[14:15], v[75:76]
	v_fma_f64 v[75:76], v[14:15], s[10:11], v[75:76]
	;; [unrolled: 1-line block ×4, first 2 shown]
	v_add_f64 v[6:7], v[6:7], v[36:37]
	v_add_f64 v[4:5], v[4:5], v[44:45]
	v_mul_f64 v[66:67], v[66:67], s[14:15]
	v_add_f64 v[10:11], v[10:11], v[77:78]
	v_fma_f64 v[36:37], v[16:17], s[16:17], v[68:69]
	v_fma_f64 v[16:17], v[16:17], s[4:5], v[75:76]
	;; [unrolled: 1-line block ×4, first 2 shown]
	v_mul_f64 v[42:43], v[62:63], s[6:7]
	v_mul_f64 v[44:45], v[64:65], s[18:19]
	v_add_f64 v[6:7], v[6:7], v[8:9]
	v_add_f64 v[4:5], v[4:5], v[40:41]
	v_fma_f64 v[8:9], v[34:35], s[6:7], v[36:37]
	v_fma_f64 v[12:13], v[48:49], s[18:19], v[12:13]
	;; [unrolled: 1-line block ×6, first 2 shown]
	v_fma_f64 v[36:37], v[46:47], s[14:15], -v[42:43]
	v_fma_f64 v[38:39], v[58:59], s[16:17], -v[44:45]
	v_add_f64 v[40:41], v[6:7], v[4:5]
	v_add_f64 v[42:43], v[8:9], v[12:13]
	v_add_f64 v[6:7], v[6:7], -v[4:5]
	v_add_f64 v[8:9], v[8:9], -v[12:13]
	s_waitcnt lgkmcnt(0)
	v_add_f64 v[44:45], v[34:35], v[14:15]
	v_add_f64 v[46:47], v[10:11], v[36:37]
	;; [unrolled: 1-line block ×3, first 2 shown]
	v_add_f64 v[12:13], v[34:35], -v[14:15]
	v_add_f64 v[10:11], v[10:11], -v[36:37]
	;; [unrolled: 1-line block ×3, first 2 shown]
	; wave barrier
	ds_write2_b64 v51, v[40:41], v[42:43] offset1:10
	ds_write2_b64 v51, v[44:45], v[46:47] offset0:20 offset1:30
	ds_write2_b64 v51, v[48:49], v[6:7] offset0:40 offset1:50
	;; [unrolled: 1-line block ×4, first 2 shown]
	s_waitcnt lgkmcnt(0)
	; wave barrier
	s_waitcnt lgkmcnt(0)
	ds_read_b64 v[62:63], v73
	ds_read2_b64 v[38:41], v72 offset0:100 offset1:130
	ds_read2_b64 v[34:37], v72 offset0:160 offset1:200
	;; [unrolled: 1-line block ×4, first 2 shown]
                                        ; implicit-def: $vgpr56_vgpr57
	s_and_saveexec_b64 s[4:5], s[2:3]
	s_cbranch_execz .LBB0_15
; %bb.14:
	ds_read2_b64 v[4:7], v72 offset0:90 offset1:190
	ds_read_b64 v[56:57], v72 offset:2320
.LBB0_15:
	s_or_b64 exec, exec, s[4:5]
	s_and_saveexec_b64 s[4:5], s[0:1]
	s_cbranch_execz .LBB0_18
; %bb.16:
	v_add_u32_e32 v70, 60, v50
	v_lshlrev_b32_e32 v58, 1, v70
	v_mov_b32_e32 v59, 0
	v_lshlrev_b64 v[8:9], 4, v[58:59]
	v_mov_b32_e32 v51, s9
	v_add_co_u32_e32 v16, vcc, s8, v8
	v_addc_co_u32_e32 v17, vcc, v51, v9, vcc
	global_load_dwordx4 v[8:11], v[16:17], off offset:1456
	global_load_dwordx4 v[12:15], v[16:17], off offset:1440
	s_mov_b32 s0, 0xe8584caa
	s_mov_b32 s1, 0x3febb67a
	;; [unrolled: 1-line block ×5, first 2 shown]
	s_waitcnt vmcnt(1) lgkmcnt(0)
	v_mul_f64 v[64:65], v[48:49], v[10:11]
	s_waitcnt vmcnt(0)
	v_mul_f64 v[16:17], v[34:35], v[14:15]
	v_mul_f64 v[14:15], v[18:19], v[14:15]
	;; [unrolled: 1-line block ×3, first 2 shown]
	v_fma_f64 v[64:65], v[32:33], v[8:9], -v[64:65]
	v_fma_f64 v[16:17], v[18:19], v[12:13], -v[16:17]
	v_fma_f64 v[12:13], v[34:35], v[12:13], v[14:15]
	v_fma_f64 v[8:9], v[48:49], v[8:9], v[10:11]
	v_add_f64 v[32:33], v[16:17], v[64:65]
	v_add_f64 v[66:67], v[16:17], -v[64:65]
	v_add_f64 v[10:11], v[12:13], v[8:9]
	v_add_f64 v[18:19], v[44:45], v[12:13]
	v_add_f64 v[12:13], v[12:13], -v[8:9]
	v_add_f64 v[16:17], v[28:29], v[16:17]
	v_fma_f64 v[32:33], v[32:33], -0.5, v[28:29]
	v_fma_f64 v[14:15], v[10:11], -0.5, v[44:45]
	v_lshlrev_b32_e32 v44, 1, v50
	v_add_u32_e32 v58, 60, v44
	v_lshlrev_b64 v[28:29], 4, v[58:59]
	v_add_f64 v[18:19], v[18:19], v[8:9]
	v_add_co_u32_e32 v28, vcc, s8, v28
	v_addc_co_u32_e32 v29, vcc, v51, v29, vcc
	v_fma_f64 v[10:11], v[66:67], s[0:1], v[14:15]
	v_fma_f64 v[14:15], v[66:67], s[4:5], v[14:15]
	;; [unrolled: 1-line block ×4, first 2 shown]
	v_add_f64 v[16:17], v[16:17], v[64:65]
	global_load_dwordx4 v[32:35], v[28:29], off offset:1456
	global_load_dwordx4 v[64:67], v[28:29], off offset:1440
	v_mov_b32_e32 v45, v59
	s_waitcnt vmcnt(0)
	v_mul_f64 v[28:29], v[40:41], v[66:67]
	v_fma_f64 v[48:49], v[24:25], v[64:65], -v[28:29]
	v_mul_f64 v[28:29], v[46:47], v[34:35]
	v_mul_f64 v[24:25], v[24:25], v[66:67]
	v_fma_f64 v[68:69], v[30:31], v[32:33], -v[28:29]
	v_mul_f64 v[30:31], v[30:31], v[34:35]
	v_fma_f64 v[24:25], v[40:41], v[64:65], v[24:25]
	v_add_f64 v[28:29], v[48:49], -v[68:69]
	v_fma_f64 v[32:33], v[46:47], v[32:33], v[30:31]
	v_add_f64 v[30:31], v[24:25], v[32:33]
	v_fma_f64 v[34:35], v[30:31], -0.5, v[42:43]
	v_fma_f64 v[30:31], v[28:29], s[0:1], v[34:35]
	v_fma_f64 v[34:35], v[28:29], s[4:5], v[34:35]
	v_add_f64 v[28:29], v[42:43], v[24:25]
	v_add_f64 v[24:25], v[24:25], -v[32:33]
	v_add_f64 v[42:43], v[28:29], v[32:33]
	v_add_f64 v[28:29], v[48:49], v[68:69]
	v_fma_f64 v[40:41], v[28:29], -0.5, v[26:27]
	v_fma_f64 v[28:29], v[24:25], s[4:5], v[40:41]
	v_fma_f64 v[32:33], v[24:25], s[0:1], v[40:41]
	v_add_f64 v[24:25], v[26:27], v[48:49]
	v_add_f64 v[40:41], v[24:25], v[68:69]
	v_lshlrev_b64 v[24:25], 4, v[44:45]
	v_add_co_u32_e32 v48, vcc, s8, v24
	v_addc_co_u32_e32 v49, vcc, v51, v25, vcc
	global_load_dwordx4 v[24:27], v[48:49], off offset:1456
	global_load_dwordx4 v[44:47], v[48:49], off offset:1440
	v_mov_b32_e32 v51, v59
	s_waitcnt vmcnt(1)
	v_mul_f64 v[64:65], v[36:37], v[26:27]
	s_waitcnt vmcnt(0)
	v_mul_f64 v[48:49], v[38:39], v[46:47]
	v_fma_f64 v[64:65], v[20:21], v[24:25], -v[64:65]
	v_fma_f64 v[48:49], v[22:23], v[44:45], -v[48:49]
	v_mul_f64 v[22:23], v[22:23], v[46:47]
	v_mul_f64 v[20:21], v[20:21], v[26:27]
	v_add_f64 v[66:67], v[48:49], -v[64:65]
	v_fma_f64 v[22:23], v[38:39], v[44:45], v[22:23]
	v_fma_f64 v[20:21], v[36:37], v[24:25], v[20:21]
	v_add_f64 v[24:25], v[22:23], v[20:21]
	v_fma_f64 v[26:27], v[24:25], -0.5, v[62:63]
	v_fma_f64 v[24:25], v[66:67], s[0:1], v[26:27]
	v_fma_f64 v[38:39], v[66:67], s[4:5], v[26:27]
	v_add_f64 v[26:27], v[62:63], v[22:23]
	v_add_f64 v[46:47], v[26:27], v[20:21]
	;; [unrolled: 1-line block ×3, first 2 shown]
	v_add_f64 v[20:21], v[22:23], -v[20:21]
	v_fma_f64 v[26:27], v[26:27], -0.5, v[60:61]
	v_fma_f64 v[22:23], v[20:21], s[4:5], v[26:27]
	v_fma_f64 v[36:37], v[20:21], s[0:1], v[26:27]
	v_add_f64 v[20:21], v[60:61], v[48:49]
	v_add_co_u32_e32 v26, vcc, s12, v52
	v_add_f64 v[44:45], v[20:21], v[64:65]
	v_mov_b32_e32 v20, s13
	v_addc_co_u32_e32 v27, vcc, v20, v53, vcc
	v_lshlrev_b64 v[20:21], 4, v[50:51]
	v_add_co_u32_e32 v20, vcc, v26, v20
	v_addc_co_u32_e32 v21, vcc, v27, v21, vcc
	global_store_dwordx4 v[20:21], v[44:47], off
	global_store_dwordx4 v[20:21], v[36:39], off offset:1600
	global_store_dwordx4 v[20:21], v[22:25], off offset:3200
	;; [unrolled: 1-line block ×5, first 2 shown]
	v_mul_hi_u32 v22, v70, s6
	v_lshrrev_b32_e32 v22, 5, v22
	v_mul_u32_u24_e32 v58, 0xc8, v22
	v_lshlrev_b64 v[22:23], 4, v[58:59]
	v_add_co_u32_e32 v22, vcc, v20, v22
	v_addc_co_u32_e32 v23, vcc, v21, v23, vcc
	v_add_co_u32_e32 v24, vcc, 0x3c0, v22
	v_addc_co_u32_e32 v25, vcc, 0, v23, vcc
	global_store_dwordx4 v[22:23], v[16:19], off offset:960
	global_store_dwordx4 v[22:23], v[12:15], off offset:2560
	;; [unrolled: 1-line block ×3, first 2 shown]
	s_and_b64 exec, exec, s[2:3]
	s_cbranch_execz .LBB0_18
; %bb.17:
	v_mov_b32_e32 v8, 0x5a
	v_cndmask_b32_e64 v8, -10, v8, s[2:3]
	v_add_lshl_u32 v58, v50, v8, 1
	v_lshlrev_b64 v[8:9], 4, v[58:59]
	v_mov_b32_e32 v10, s9
	v_add_co_u32_e32 v16, vcc, s8, v8
	v_addc_co_u32_e32 v17, vcc, v10, v9, vcc
	global_load_dwordx4 v[8:11], v[16:17], off offset:1440
	global_load_dwordx4 v[12:15], v[16:17], off offset:1456
	s_waitcnt vmcnt(1)
	v_mul_f64 v[16:17], v[6:7], v[10:11]
	s_waitcnt vmcnt(0)
	v_mul_f64 v[18:19], v[56:57], v[14:15]
	v_mul_f64 v[10:11], v[2:3], v[10:11]
	;; [unrolled: 1-line block ×3, first 2 shown]
	v_fma_f64 v[2:3], v[2:3], v[8:9], -v[16:17]
	v_fma_f64 v[16:17], v[54:55], v[12:13], -v[18:19]
	v_fma_f64 v[6:7], v[6:7], v[8:9], v[10:11]
	v_fma_f64 v[8:9], v[56:57], v[12:13], v[14:15]
	v_add_f64 v[14:15], v[0:1], v[2:3]
	v_add_f64 v[10:11], v[2:3], v[16:17]
	v_add_f64 v[22:23], v[2:3], -v[16:17]
	v_add_f64 v[12:13], v[6:7], v[8:9]
	v_add_f64 v[18:19], v[6:7], -v[8:9]
	v_add_f64 v[6:7], v[4:5], v[6:7]
	v_fma_f64 v[10:11], v[10:11], -0.5, v[0:1]
	v_add_f64 v[0:1], v[14:15], v[16:17]
	v_fma_f64 v[12:13], v[12:13], -0.5, v[4:5]
	v_add_f64 v[2:3], v[6:7], v[8:9]
	v_fma_f64 v[4:5], v[18:19], s[0:1], v[10:11]
	v_fma_f64 v[8:9], v[18:19], s[4:5], v[10:11]
	;; [unrolled: 1-line block ×4, first 2 shown]
	v_add_co_u32_e32 v12, vcc, 0x1000, v20
	v_addc_co_u32_e32 v13, vcc, 0, v21, vcc
	global_store_dwordx4 v[20:21], v[0:3], off offset:1440
	global_store_dwordx4 v[20:21], v[4:7], off offset:3040
	;; [unrolled: 1-line block ×3, first 2 shown]
.LBB0_18:
	s_endpgm
	.section	.rodata,"a",@progbits
	.p2align	6, 0x0
	.amdhsa_kernel fft_rtc_fwd_len300_factors_10_10_3_wgs_60_tpt_30_halfLds_dp_ip_CI_unitstride_sbrr_dirReg
		.amdhsa_group_segment_fixed_size 0
		.amdhsa_private_segment_fixed_size 0
		.amdhsa_kernarg_size 88
		.amdhsa_user_sgpr_count 6
		.amdhsa_user_sgpr_private_segment_buffer 1
		.amdhsa_user_sgpr_dispatch_ptr 0
		.amdhsa_user_sgpr_queue_ptr 0
		.amdhsa_user_sgpr_kernarg_segment_ptr 1
		.amdhsa_user_sgpr_dispatch_id 0
		.amdhsa_user_sgpr_flat_scratch_init 0
		.amdhsa_user_sgpr_private_segment_size 0
		.amdhsa_uses_dynamic_stack 0
		.amdhsa_system_sgpr_private_segment_wavefront_offset 0
		.amdhsa_system_sgpr_workgroup_id_x 1
		.amdhsa_system_sgpr_workgroup_id_y 0
		.amdhsa_system_sgpr_workgroup_id_z 0
		.amdhsa_system_sgpr_workgroup_info 0
		.amdhsa_system_vgpr_workitem_id 0
		.amdhsa_next_free_vgpr 84
		.amdhsa_next_free_sgpr 22
		.amdhsa_reserve_vcc 1
		.amdhsa_reserve_flat_scratch 0
		.amdhsa_float_round_mode_32 0
		.amdhsa_float_round_mode_16_64 0
		.amdhsa_float_denorm_mode_32 3
		.amdhsa_float_denorm_mode_16_64 3
		.amdhsa_dx10_clamp 1
		.amdhsa_ieee_mode 1
		.amdhsa_fp16_overflow 0
		.amdhsa_exception_fp_ieee_invalid_op 0
		.amdhsa_exception_fp_denorm_src 0
		.amdhsa_exception_fp_ieee_div_zero 0
		.amdhsa_exception_fp_ieee_overflow 0
		.amdhsa_exception_fp_ieee_underflow 0
		.amdhsa_exception_fp_ieee_inexact 0
		.amdhsa_exception_int_div_zero 0
	.end_amdhsa_kernel
	.text
.Lfunc_end0:
	.size	fft_rtc_fwd_len300_factors_10_10_3_wgs_60_tpt_30_halfLds_dp_ip_CI_unitstride_sbrr_dirReg, .Lfunc_end0-fft_rtc_fwd_len300_factors_10_10_3_wgs_60_tpt_30_halfLds_dp_ip_CI_unitstride_sbrr_dirReg
                                        ; -- End function
	.section	.AMDGPU.csdata,"",@progbits
; Kernel info:
; codeLenInByte = 5872
; NumSgprs: 26
; NumVgprs: 84
; ScratchSize: 0
; MemoryBound: 1
; FloatMode: 240
; IeeeMode: 1
; LDSByteSize: 0 bytes/workgroup (compile time only)
; SGPRBlocks: 3
; VGPRBlocks: 20
; NumSGPRsForWavesPerEU: 26
; NumVGPRsForWavesPerEU: 84
; Occupancy: 3
; WaveLimiterHint : 1
; COMPUTE_PGM_RSRC2:SCRATCH_EN: 0
; COMPUTE_PGM_RSRC2:USER_SGPR: 6
; COMPUTE_PGM_RSRC2:TRAP_HANDLER: 0
; COMPUTE_PGM_RSRC2:TGID_X_EN: 1
; COMPUTE_PGM_RSRC2:TGID_Y_EN: 0
; COMPUTE_PGM_RSRC2:TGID_Z_EN: 0
; COMPUTE_PGM_RSRC2:TIDIG_COMP_CNT: 0
	.type	__hip_cuid_5af43e11bdd4c7c,@object ; @__hip_cuid_5af43e11bdd4c7c
	.section	.bss,"aw",@nobits
	.globl	__hip_cuid_5af43e11bdd4c7c
__hip_cuid_5af43e11bdd4c7c:
	.byte	0                               ; 0x0
	.size	__hip_cuid_5af43e11bdd4c7c, 1

	.ident	"AMD clang version 19.0.0git (https://github.com/RadeonOpenCompute/llvm-project roc-6.4.0 25133 c7fe45cf4b819c5991fe208aaa96edf142730f1d)"
	.section	".note.GNU-stack","",@progbits
	.addrsig
	.addrsig_sym __hip_cuid_5af43e11bdd4c7c
	.amdgpu_metadata
---
amdhsa.kernels:
  - .args:
      - .actual_access:  read_only
        .address_space:  global
        .offset:         0
        .size:           8
        .value_kind:     global_buffer
      - .offset:         8
        .size:           8
        .value_kind:     by_value
      - .actual_access:  read_only
        .address_space:  global
        .offset:         16
        .size:           8
        .value_kind:     global_buffer
      - .actual_access:  read_only
        .address_space:  global
        .offset:         24
        .size:           8
        .value_kind:     global_buffer
      - .offset:         32
        .size:           8
        .value_kind:     by_value
      - .actual_access:  read_only
        .address_space:  global
        .offset:         40
        .size:           8
        .value_kind:     global_buffer
      - .actual_access:  read_only
        .address_space:  global
        .offset:         48
        .size:           8
        .value_kind:     global_buffer
      - .offset:         56
        .size:           4
        .value_kind:     by_value
      - .actual_access:  read_only
        .address_space:  global
        .offset:         64
        .size:           8
        .value_kind:     global_buffer
      - .actual_access:  read_only
        .address_space:  global
        .offset:         72
        .size:           8
        .value_kind:     global_buffer
      - .address_space:  global
        .offset:         80
        .size:           8
        .value_kind:     global_buffer
    .group_segment_fixed_size: 0
    .kernarg_segment_align: 8
    .kernarg_segment_size: 88
    .language:       OpenCL C
    .language_version:
      - 2
      - 0
    .max_flat_workgroup_size: 60
    .name:           fft_rtc_fwd_len300_factors_10_10_3_wgs_60_tpt_30_halfLds_dp_ip_CI_unitstride_sbrr_dirReg
    .private_segment_fixed_size: 0
    .sgpr_count:     26
    .sgpr_spill_count: 0
    .symbol:         fft_rtc_fwd_len300_factors_10_10_3_wgs_60_tpt_30_halfLds_dp_ip_CI_unitstride_sbrr_dirReg.kd
    .uniform_work_group_size: 1
    .uses_dynamic_stack: false
    .vgpr_count:     84
    .vgpr_spill_count: 0
    .wavefront_size: 64
amdhsa.target:   amdgcn-amd-amdhsa--gfx906
amdhsa.version:
  - 1
  - 2
...

	.end_amdgpu_metadata
